;; amdgpu-corpus repo=ROCm/rocFFT kind=compiled arch=gfx1201 opt=O3
	.text
	.amdgcn_target "amdgcn-amd-amdhsa--gfx1201"
	.amdhsa_code_object_version 6
	.protected	fft_rtc_fwd_len400_factors_4_10_10_wgs_120_tpt_40_halfLds_sp_op_CI_CI_unitstride_sbrr_C2R_dirReg ; -- Begin function fft_rtc_fwd_len400_factors_4_10_10_wgs_120_tpt_40_halfLds_sp_op_CI_CI_unitstride_sbrr_C2R_dirReg
	.globl	fft_rtc_fwd_len400_factors_4_10_10_wgs_120_tpt_40_halfLds_sp_op_CI_CI_unitstride_sbrr_C2R_dirReg
	.p2align	8
	.type	fft_rtc_fwd_len400_factors_4_10_10_wgs_120_tpt_40_halfLds_sp_op_CI_CI_unitstride_sbrr_C2R_dirReg,@function
fft_rtc_fwd_len400_factors_4_10_10_wgs_120_tpt_40_halfLds_sp_op_CI_CI_unitstride_sbrr_C2R_dirReg: ; @fft_rtc_fwd_len400_factors_4_10_10_wgs_120_tpt_40_halfLds_sp_op_CI_CI_unitstride_sbrr_C2R_dirReg
; %bb.0:
	s_load_b128 s[8:11], s[0:1], 0x0
	v_mul_u32_u24_e32 v1, 0x667, v0
	s_clause 0x1
	s_load_b128 s[4:7], s[0:1], 0x58
	s_load_b128 s[12:15], s[0:1], 0x18
	v_mov_b32_e32 v5, 0
	v_lshrrev_b32_e32 v3, 16, v1
	v_mov_b32_e32 v1, 0
	v_mov_b32_e32 v2, 0
	s_delay_alu instid0(VALU_DEP_3) | instskip(NEXT) | instid1(VALU_DEP_2)
	v_mad_co_u64_u32 v[3:4], null, ttmp9, 3, v[3:4]
	v_dual_mov_b32 v4, v5 :: v_dual_mov_b32 v13, v2
	s_delay_alu instid0(VALU_DEP_1) | instskip(NEXT) | instid1(VALU_DEP_3)
	v_dual_mov_b32 v12, v1 :: v_dual_mov_b32 v17, v4
	v_mov_b32_e32 v16, v3
	s_wait_kmcnt 0x0
	v_cmp_lt_u64_e64 s2, s[10:11], 2
	s_delay_alu instid0(VALU_DEP_1)
	s_and_b32 vcc_lo, exec_lo, s2
	s_cbranch_vccnz .LBB0_8
; %bb.1:
	s_load_b64 s[2:3], s[0:1], 0x10
	v_dual_mov_b32 v1, 0 :: v_dual_mov_b32 v8, v4
	v_dual_mov_b32 v2, 0 :: v_dual_mov_b32 v7, v3
	s_add_nc_u64 s[16:17], s[14:15], 8
	s_add_nc_u64 s[18:19], s[12:13], 8
	s_mov_b64 s[20:21], 1
	s_delay_alu instid0(VALU_DEP_1)
	v_dual_mov_b32 v13, v2 :: v_dual_mov_b32 v12, v1
	s_wait_kmcnt 0x0
	s_add_nc_u64 s[22:23], s[2:3], 8
	s_mov_b32 s3, 0
.LBB0_2:                                ; =>This Inner Loop Header: Depth=1
	s_load_b64 s[24:25], s[22:23], 0x0
                                        ; implicit-def: $vgpr16_vgpr17
	s_mov_b32 s2, exec_lo
	s_wait_kmcnt 0x0
	v_or_b32_e32 v6, s25, v8
	s_delay_alu instid0(VALU_DEP_1)
	v_cmpx_ne_u64_e32 0, v[5:6]
	s_wait_alu 0xfffe
	s_xor_b32 s26, exec_lo, s2
	s_cbranch_execz .LBB0_4
; %bb.3:                                ;   in Loop: Header=BB0_2 Depth=1
	s_cvt_f32_u32 s2, s24
	s_cvt_f32_u32 s27, s25
	s_sub_nc_u64 s[30:31], 0, s[24:25]
	s_wait_alu 0xfffe
	s_delay_alu instid0(SALU_CYCLE_1) | instskip(SKIP_1) | instid1(SALU_CYCLE_2)
	s_fmamk_f32 s2, s27, 0x4f800000, s2
	s_wait_alu 0xfffe
	v_s_rcp_f32 s2, s2
	s_delay_alu instid0(TRANS32_DEP_1) | instskip(SKIP_1) | instid1(SALU_CYCLE_2)
	s_mul_f32 s2, s2, 0x5f7ffffc
	s_wait_alu 0xfffe
	s_mul_f32 s27, s2, 0x2f800000
	s_wait_alu 0xfffe
	s_delay_alu instid0(SALU_CYCLE_2) | instskip(SKIP_1) | instid1(SALU_CYCLE_2)
	s_trunc_f32 s27, s27
	s_wait_alu 0xfffe
	s_fmamk_f32 s2, s27, 0xcf800000, s2
	s_cvt_u32_f32 s29, s27
	s_wait_alu 0xfffe
	s_delay_alu instid0(SALU_CYCLE_1) | instskip(SKIP_1) | instid1(SALU_CYCLE_2)
	s_cvt_u32_f32 s28, s2
	s_wait_alu 0xfffe
	s_mul_u64 s[34:35], s[30:31], s[28:29]
	s_wait_alu 0xfffe
	s_mul_hi_u32 s37, s28, s35
	s_mul_i32 s36, s28, s35
	s_mul_hi_u32 s2, s28, s34
	s_mul_i32 s33, s29, s34
	s_wait_alu 0xfffe
	s_add_nc_u64 s[36:37], s[2:3], s[36:37]
	s_mul_hi_u32 s27, s29, s34
	s_mul_hi_u32 s38, s29, s35
	s_add_co_u32 s2, s36, s33
	s_wait_alu 0xfffe
	s_add_co_ci_u32 s2, s37, s27
	s_mul_i32 s34, s29, s35
	s_add_co_ci_u32 s35, s38, 0
	s_wait_alu 0xfffe
	s_add_nc_u64 s[34:35], s[2:3], s[34:35]
	s_wait_alu 0xfffe
	v_add_co_u32 v4, s2, s28, s34
	s_delay_alu instid0(VALU_DEP_1) | instskip(SKIP_1) | instid1(VALU_DEP_1)
	s_cmp_lg_u32 s2, 0
	s_add_co_ci_u32 s29, s29, s35
	v_readfirstlane_b32 s28, v4
	s_wait_alu 0xfffe
	s_delay_alu instid0(VALU_DEP_1)
	s_mul_u64 s[30:31], s[30:31], s[28:29]
	s_wait_alu 0xfffe
	s_mul_hi_u32 s35, s28, s31
	s_mul_i32 s34, s28, s31
	s_mul_hi_u32 s2, s28, s30
	s_mul_i32 s33, s29, s30
	s_wait_alu 0xfffe
	s_add_nc_u64 s[34:35], s[2:3], s[34:35]
	s_mul_hi_u32 s27, s29, s30
	s_mul_hi_u32 s28, s29, s31
	s_wait_alu 0xfffe
	s_add_co_u32 s2, s34, s33
	s_add_co_ci_u32 s2, s35, s27
	s_mul_i32 s30, s29, s31
	s_add_co_ci_u32 s31, s28, 0
	s_wait_alu 0xfffe
	s_add_nc_u64 s[30:31], s[2:3], s[30:31]
	s_wait_alu 0xfffe
	v_add_co_u32 v4, s2, v4, s30
	s_delay_alu instid0(VALU_DEP_1) | instskip(SKIP_1) | instid1(VALU_DEP_1)
	s_cmp_lg_u32 s2, 0
	s_add_co_ci_u32 s2, s29, s31
	v_mul_hi_u32 v6, v7, v4
	s_wait_alu 0xfffe
	v_mad_co_u64_u32 v[9:10], null, v7, s2, 0
	v_mad_co_u64_u32 v[14:15], null, v8, v4, 0
	;; [unrolled: 1-line block ×3, first 2 shown]
	s_delay_alu instid0(VALU_DEP_3) | instskip(SKIP_1) | instid1(VALU_DEP_4)
	v_add_co_u32 v4, vcc_lo, v6, v9
	s_wait_alu 0xfffd
	v_add_co_ci_u32_e32 v6, vcc_lo, 0, v10, vcc_lo
	s_delay_alu instid0(VALU_DEP_2) | instskip(SKIP_1) | instid1(VALU_DEP_2)
	v_add_co_u32 v4, vcc_lo, v4, v14
	s_wait_alu 0xfffd
	v_add_co_ci_u32_e32 v4, vcc_lo, v6, v15, vcc_lo
	s_wait_alu 0xfffd
	v_add_co_ci_u32_e32 v6, vcc_lo, 0, v17, vcc_lo
	s_delay_alu instid0(VALU_DEP_2) | instskip(SKIP_1) | instid1(VALU_DEP_2)
	v_add_co_u32 v4, vcc_lo, v4, v16
	s_wait_alu 0xfffd
	v_add_co_ci_u32_e32 v6, vcc_lo, 0, v6, vcc_lo
	s_delay_alu instid0(VALU_DEP_2) | instskip(SKIP_1) | instid1(VALU_DEP_3)
	v_mul_lo_u32 v11, s25, v4
	v_mad_co_u64_u32 v[9:10], null, s24, v4, 0
	v_mul_lo_u32 v14, s24, v6
	s_delay_alu instid0(VALU_DEP_2) | instskip(NEXT) | instid1(VALU_DEP_2)
	v_sub_co_u32 v9, vcc_lo, v7, v9
	v_add3_u32 v10, v10, v14, v11
	s_delay_alu instid0(VALU_DEP_1) | instskip(SKIP_1) | instid1(VALU_DEP_1)
	v_sub_nc_u32_e32 v11, v8, v10
	s_wait_alu 0xfffd
	v_subrev_co_ci_u32_e64 v11, s2, s25, v11, vcc_lo
	v_add_co_u32 v14, s2, v4, 2
	s_wait_alu 0xf1ff
	v_add_co_ci_u32_e64 v15, s2, 0, v6, s2
	v_sub_co_u32 v16, s2, v9, s24
	v_sub_co_ci_u32_e32 v10, vcc_lo, v8, v10, vcc_lo
	s_wait_alu 0xf1ff
	v_subrev_co_ci_u32_e64 v11, s2, 0, v11, s2
	s_delay_alu instid0(VALU_DEP_3) | instskip(NEXT) | instid1(VALU_DEP_3)
	v_cmp_le_u32_e32 vcc_lo, s24, v16
	v_cmp_eq_u32_e64 s2, s25, v10
	s_wait_alu 0xfffd
	v_cndmask_b32_e64 v16, 0, -1, vcc_lo
	v_cmp_le_u32_e32 vcc_lo, s25, v11
	s_wait_alu 0xfffd
	v_cndmask_b32_e64 v17, 0, -1, vcc_lo
	v_cmp_le_u32_e32 vcc_lo, s24, v9
	;; [unrolled: 3-line block ×3, first 2 shown]
	s_wait_alu 0xfffd
	v_cndmask_b32_e64 v18, 0, -1, vcc_lo
	v_cmp_eq_u32_e32 vcc_lo, s25, v11
	s_wait_alu 0xf1ff
	s_delay_alu instid0(VALU_DEP_2)
	v_cndmask_b32_e64 v9, v18, v9, s2
	s_wait_alu 0xfffd
	v_cndmask_b32_e32 v11, v17, v16, vcc_lo
	v_add_co_u32 v16, vcc_lo, v4, 1
	s_wait_alu 0xfffd
	v_add_co_ci_u32_e32 v17, vcc_lo, 0, v6, vcc_lo
	s_delay_alu instid0(VALU_DEP_3) | instskip(SKIP_1) | instid1(VALU_DEP_2)
	v_cmp_ne_u32_e32 vcc_lo, 0, v11
	s_wait_alu 0xfffd
	v_dual_cndmask_b32 v10, v17, v15 :: v_dual_cndmask_b32 v11, v16, v14
	v_cmp_ne_u32_e32 vcc_lo, 0, v9
	s_wait_alu 0xfffd
	s_delay_alu instid0(VALU_DEP_2)
	v_dual_cndmask_b32 v17, v6, v10 :: v_dual_cndmask_b32 v16, v4, v11
.LBB0_4:                                ;   in Loop: Header=BB0_2 Depth=1
	s_wait_alu 0xfffe
	s_and_not1_saveexec_b32 s2, s26
	s_cbranch_execz .LBB0_6
; %bb.5:                                ;   in Loop: Header=BB0_2 Depth=1
	v_cvt_f32_u32_e32 v4, s24
	s_sub_co_i32 s26, 0, s24
	v_mov_b32_e32 v17, v5
	s_delay_alu instid0(VALU_DEP_2) | instskip(NEXT) | instid1(TRANS32_DEP_1)
	v_rcp_iflag_f32_e32 v4, v4
	v_mul_f32_e32 v4, 0x4f7ffffe, v4
	s_delay_alu instid0(VALU_DEP_1) | instskip(SKIP_1) | instid1(VALU_DEP_1)
	v_cvt_u32_f32_e32 v4, v4
	s_wait_alu 0xfffe
	v_mul_lo_u32 v6, s26, v4
	s_delay_alu instid0(VALU_DEP_1) | instskip(NEXT) | instid1(VALU_DEP_1)
	v_mul_hi_u32 v6, v4, v6
	v_add_nc_u32_e32 v4, v4, v6
	s_delay_alu instid0(VALU_DEP_1) | instskip(NEXT) | instid1(VALU_DEP_1)
	v_mul_hi_u32 v4, v7, v4
	v_mul_lo_u32 v6, v4, s24
	s_delay_alu instid0(VALU_DEP_1) | instskip(NEXT) | instid1(VALU_DEP_1)
	v_sub_nc_u32_e32 v6, v7, v6
	v_subrev_nc_u32_e32 v10, s24, v6
	v_cmp_le_u32_e32 vcc_lo, s24, v6
	s_wait_alu 0xfffd
	s_delay_alu instid0(VALU_DEP_2) | instskip(NEXT) | instid1(VALU_DEP_1)
	v_dual_cndmask_b32 v6, v6, v10 :: v_dual_add_nc_u32 v9, 1, v4
	v_cndmask_b32_e32 v4, v4, v9, vcc_lo
	s_delay_alu instid0(VALU_DEP_2) | instskip(NEXT) | instid1(VALU_DEP_2)
	v_cmp_le_u32_e32 vcc_lo, s24, v6
	v_add_nc_u32_e32 v9, 1, v4
	s_wait_alu 0xfffd
	s_delay_alu instid0(VALU_DEP_1)
	v_cndmask_b32_e32 v16, v4, v9, vcc_lo
.LBB0_6:                                ;   in Loop: Header=BB0_2 Depth=1
	s_wait_alu 0xfffe
	s_or_b32 exec_lo, exec_lo, s2
	v_mul_lo_u32 v4, v17, s24
	s_delay_alu instid0(VALU_DEP_2)
	v_mul_lo_u32 v6, v16, s25
	s_load_b64 s[26:27], s[18:19], 0x0
	v_mad_co_u64_u32 v[9:10], null, v16, s24, 0
	s_load_b64 s[24:25], s[16:17], 0x0
	s_add_nc_u64 s[20:21], s[20:21], 1
	s_add_nc_u64 s[16:17], s[16:17], 8
	s_wait_alu 0xfffe
	v_cmp_ge_u64_e64 s2, s[20:21], s[10:11]
	s_add_nc_u64 s[18:19], s[18:19], 8
	s_add_nc_u64 s[22:23], s[22:23], 8
	v_add3_u32 v4, v10, v6, v4
	v_sub_co_u32 v6, vcc_lo, v7, v9
	s_wait_alu 0xfffd
	s_delay_alu instid0(VALU_DEP_2) | instskip(SKIP_2) | instid1(VALU_DEP_1)
	v_sub_co_ci_u32_e32 v4, vcc_lo, v8, v4, vcc_lo
	s_and_b32 vcc_lo, exec_lo, s2
	s_wait_kmcnt 0x0
	v_mul_lo_u32 v7, s26, v4
	v_mul_lo_u32 v8, s27, v6
	v_mad_co_u64_u32 v[1:2], null, s26, v6, v[1:2]
	v_mul_lo_u32 v4, s24, v4
	v_mul_lo_u32 v9, s25, v6
	v_mad_co_u64_u32 v[12:13], null, s24, v6, v[12:13]
	s_delay_alu instid0(VALU_DEP_4) | instskip(NEXT) | instid1(VALU_DEP_2)
	v_add3_u32 v2, v8, v2, v7
	v_add3_u32 v13, v9, v13, v4
	s_wait_alu 0xfffe
	s_cbranch_vccnz .LBB0_8
; %bb.7:                                ;   in Loop: Header=BB0_2 Depth=1
	v_dual_mov_b32 v7, v16 :: v_dual_mov_b32 v8, v17
	s_branch .LBB0_2
.LBB0_8:
	s_load_b64 s[0:1], s[0:1], 0x28
	v_mul_hi_u32 v4, 0xaaaaaaab, v3
	s_lshl_b64 s[10:11], s[10:11], 3
                                        ; implicit-def: $vgpr14
	s_wait_alu 0xfffe
	s_add_nc_u64 s[2:3], s[14:15], s[10:11]
	s_delay_alu instid0(VALU_DEP_1) | instskip(NEXT) | instid1(VALU_DEP_1)
	v_lshrrev_b32_e32 v4, 1, v4
	v_lshl_add_u32 v5, v4, 1, v4
	v_mul_hi_u32 v4, 0x6666667, v0
	s_delay_alu instid0(VALU_DEP_2) | instskip(SKIP_3) | instid1(VALU_DEP_1)
	v_sub_nc_u32_e32 v3, v3, v5
	s_wait_kmcnt 0x0
	v_cmp_gt_u64_e32 vcc_lo, s[0:1], v[16:17]
	v_cmp_le_u64_e64 s0, s[0:1], v[16:17]
	s_and_saveexec_b32 s1, s0
	s_wait_alu 0xfffe
	s_xor_b32 s0, exec_lo, s1
; %bb.9:
	v_mul_u32_u24_e32 v1, 40, v4
                                        ; implicit-def: $vgpr4
	s_delay_alu instid0(VALU_DEP_1)
	v_sub_nc_u32_e32 v14, v0, v1
                                        ; implicit-def: $vgpr0
                                        ; implicit-def: $vgpr1_vgpr2
; %bb.10:
	s_wait_alu 0xfffe
	s_or_saveexec_b32 s1, s0
	s_load_b64 s[2:3], s[2:3], 0x0
	v_mul_u32_u24_e32 v3, 0x191, v3
	s_delay_alu instid0(VALU_DEP_1)
	v_lshlrev_b32_e32 v24, 3, v3
	s_xor_b32 exec_lo, exec_lo, s1
	s_cbranch_execz .LBB0_14
; %bb.11:
	s_add_nc_u64 s[10:11], s[12:13], s[10:11]
	v_lshlrev_b64_e32 v[1:2], 3, v[1:2]
	s_load_b64 s[10:11], s[10:11], 0x0
	s_wait_kmcnt 0x0
	v_mul_lo_u32 v7, s11, v16
	v_mul_lo_u32 v8, s10, v17
	v_mad_co_u64_u32 v[5:6], null, s10, v16, 0
	s_delay_alu instid0(VALU_DEP_1) | instskip(SKIP_1) | instid1(VALU_DEP_2)
	v_add3_u32 v6, v6, v8, v7
	v_mul_u32_u24_e32 v7, 40, v4
	v_lshlrev_b64_e32 v[4:5], 3, v[5:6]
	s_delay_alu instid0(VALU_DEP_2) | instskip(NEXT) | instid1(VALU_DEP_1)
	v_sub_nc_u32_e32 v14, v0, v7
	v_lshlrev_b32_e32 v15, 3, v14
	s_delay_alu instid0(VALU_DEP_3) | instskip(SKIP_1) | instid1(VALU_DEP_4)
	v_add_co_u32 v0, s0, s4, v4
	s_wait_alu 0xf1ff
	v_add_co_ci_u32_e64 v4, s0, s5, v5, s0
	s_mov_b32 s4, exec_lo
	s_delay_alu instid0(VALU_DEP_2) | instskip(SKIP_1) | instid1(VALU_DEP_2)
	v_add_co_u32 v0, s0, v0, v1
	s_wait_alu 0xf1ff
	v_add_co_ci_u32_e64 v1, s0, v4, v2, s0
	v_add3_u32 v2, 0, v24, v15
	s_delay_alu instid0(VALU_DEP_3) | instskip(SKIP_1) | instid1(VALU_DEP_3)
	v_add_co_u32 v4, s0, v0, v15
	s_wait_alu 0xf1ff
	v_add_co_ci_u32_e64 v5, s0, 0, v1, s0
	s_clause 0x9
	global_load_b64 v[6:7], v[4:5], off
	global_load_b64 v[8:9], v[4:5], off offset:320
	global_load_b64 v[10:11], v[4:5], off offset:640
	;; [unrolled: 1-line block ×9, first 2 shown]
	v_add_nc_u32_e32 v15, 0x400, v2
	v_add_nc_u32_e32 v31, 0x800, v2
	s_wait_loadcnt 0x8
	ds_store_2addr_b64 v2, v[6:7], v[8:9] offset1:40
	s_wait_loadcnt 0x6
	ds_store_2addr_b64 v2, v[10:11], v[18:19] offset0:80 offset1:120
	s_wait_loadcnt 0x4
	ds_store_2addr_b64 v2, v[20:21], v[22:23] offset0:160 offset1:200
	;; [unrolled: 2-line block ×4, first 2 shown]
	v_cmpx_eq_u32_e32 39, v14
	s_cbranch_execz .LBB0_13
; %bb.12:
	global_load_b64 v[0:1], v[0:1], off offset:3200
	v_mov_b32_e32 v14, 39
	s_wait_loadcnt 0x0
	ds_store_b64 v2, v[0:1] offset:2888
.LBB0_13:
	s_wait_alu 0xfffe
	s_or_b32 exec_lo, exec_lo, s4
.LBB0_14:
	s_delay_alu instid0(SALU_CYCLE_1)
	s_or_b32 exec_lo, exec_lo, s1
	v_lshl_add_u32 v20, v3, 3, 0
	v_lshlrev_b32_e32 v5, 3, v14
	global_wb scope:SCOPE_SE
	s_wait_dscnt 0x0
	s_wait_kmcnt 0x0
	s_barrier_signal -1
	s_barrier_wait -1
	global_inv scope:SCOPE_SE
	v_add_nc_u32_e32 v23, v20, v5
	v_sub_nc_u32_e32 v4, v20, v5
	s_mov_b32 s1, exec_lo
                                        ; implicit-def: $vgpr2_vgpr3
	ds_load_b32 v6, v23
	ds_load_b32 v7, v4 offset:3200
	s_wait_dscnt 0x0
	v_dual_add_f32 v0, v7, v6 :: v_dual_sub_f32 v1, v6, v7
	v_cmpx_ne_u32_e32 0, v14
	s_wait_alu 0xfffe
	s_xor_b32 s1, exec_lo, s1
	s_cbranch_execz .LBB0_16
; %bb.15:
	v_dual_mov_b32 v15, 0 :: v_dual_add_f32 v8, v7, v6
	s_delay_alu instid0(VALU_DEP_1) | instskip(NEXT) | instid1(VALU_DEP_1)
	v_lshlrev_b64_e32 v[0:1], 3, v[14:15]
	v_add_co_u32 v0, s0, s8, v0
	s_wait_alu 0xf1ff
	s_delay_alu instid0(VALU_DEP_2)
	v_add_co_ci_u32_e64 v1, s0, s9, v1, s0
	global_load_b64 v[2:3], v[0:1], off offset:3168
	ds_load_b32 v0, v4 offset:3204
	ds_load_b32 v1, v23 offset:4
	s_wait_dscnt 0x0
	v_dual_sub_f32 v9, v6, v7 :: v_dual_add_f32 v10, v0, v1
	v_sub_f32_e32 v0, v1, v0
	s_wait_loadcnt 0x0
	s_delay_alu instid0(VALU_DEP_2) | instskip(NEXT) | instid1(VALU_DEP_2)
	v_fma_f32 v6, -v9, v3, v8
	v_fma_f32 v7, v10, v3, -v0
	v_fma_f32 v11, v9, v3, v8
	v_fma_f32 v1, v10, v3, v0
	s_delay_alu instid0(VALU_DEP_4) | instskip(NEXT) | instid1(VALU_DEP_4)
	v_fmac_f32_e32 v6, v2, v10
	v_fmac_f32_e32 v7, v9, v2
	s_delay_alu instid0(VALU_DEP_4) | instskip(NEXT) | instid1(VALU_DEP_4)
	v_fma_f32 v0, -v2, v10, v11
	v_dual_fmac_f32 v1, v9, v2 :: v_dual_mov_b32 v2, v14
	v_mov_b32_e32 v3, v15
	ds_store_b64 v4, v[6:7] offset:3200
.LBB0_16:
	s_wait_alu 0xfffe
	s_and_not1_saveexec_b32 s0, s1
	s_cbranch_execz .LBB0_18
; %bb.17:
	ds_load_b64 v[2:3], v20 offset:1600
	s_wait_dscnt 0x0
	v_dual_add_f32 v6, v2, v2 :: v_dual_mul_f32 v7, -2.0, v3
	v_mov_b32_e32 v2, 0
	v_mov_b32_e32 v3, 0
	ds_store_b64 v20, v[6:7] offset:1600
.LBB0_18:
	s_wait_alu 0xfffe
	s_or_b32 exec_lo, exec_lo, s0
	v_lshlrev_b64_e32 v[2:3], 3, v[2:3]
	s_add_nc_u64 s[0:1], s[8:9], 0xc60
	s_wait_alu 0xfffe
	s_delay_alu instid0(VALU_DEP_1) | instskip(SKIP_1) | instid1(VALU_DEP_2)
	v_add_co_u32 v2, s0, s0, v2
	s_wait_alu 0xf1ff
	v_add_co_ci_u32_e64 v3, s0, s1, v3, s0
	v_cmp_gt_u32_e64 s0, 20, v14
	s_clause 0x3
	global_load_b64 v[6:7], v[2:3], off offset:320
	global_load_b64 v[8:9], v[2:3], off offset:640
	;; [unrolled: 1-line block ×4, first 2 shown]
	ds_store_b64 v23, v[0:1]
	ds_load_b64 v[0:1], v23 offset:320
	ds_load_b64 v[18:19], v4 offset:2880
	s_wait_dscnt 0x0
	v_add_f32_e32 v15, v0, v18
	v_dual_add_f32 v21, v19, v1 :: v_dual_sub_f32 v22, v0, v18
	v_sub_f32_e32 v0, v1, v19
	s_wait_loadcnt 0x3
	s_delay_alu instid0(VALU_DEP_2) | instskip(NEXT) | instid1(VALU_DEP_2)
	v_fma_f32 v25, v22, v7, v15
	v_fma_f32 v1, v21, v7, v0
	v_fma_f32 v18, -v22, v7, v15
	v_fma_f32 v19, v21, v7, -v0
	s_delay_alu instid0(VALU_DEP_4) | instskip(NEXT) | instid1(VALU_DEP_4)
	v_fma_f32 v0, -v6, v21, v25
	v_fmac_f32_e32 v1, v22, v6
	s_delay_alu instid0(VALU_DEP_4) | instskip(NEXT) | instid1(VALU_DEP_4)
	v_fmac_f32_e32 v18, v6, v21
	v_fmac_f32_e32 v19, v22, v6
	ds_store_b64 v23, v[0:1] offset:320
	ds_store_b64 v4, v[18:19] offset:2880
	ds_load_b64 v[0:1], v23 offset:640
	ds_load_b64 v[6:7], v4 offset:2560
	s_wait_dscnt 0x0
	v_dual_add_f32 v18, v7, v1 :: v_dual_add_f32 v15, v0, v6
	v_dual_sub_f32 v19, v0, v6 :: v_dual_sub_f32 v0, v1, v7
	s_wait_loadcnt 0x2
	s_delay_alu instid0(VALU_DEP_1) | instskip(NEXT) | instid1(VALU_DEP_2)
	v_fma_f32 v21, v19, v9, v15
	v_fma_f32 v1, v18, v9, v0
	v_fma_f32 v6, -v19, v9, v15
	v_fma_f32 v7, v18, v9, -v0
	s_delay_alu instid0(VALU_DEP_4) | instskip(NEXT) | instid1(VALU_DEP_3)
	v_fma_f32 v0, -v8, v18, v21
	v_dual_fmac_f32 v1, v19, v8 :: v_dual_fmac_f32 v6, v8, v18
	s_delay_alu instid0(VALU_DEP_3)
	v_fmac_f32_e32 v7, v19, v8
	ds_store_b64 v23, v[0:1] offset:640
	ds_store_b64 v4, v[6:7] offset:2560
	ds_load_b64 v[0:1], v23 offset:960
	ds_load_b64 v[6:7], v4 offset:2240
	s_wait_dscnt 0x0
	v_dual_add_f32 v8, v0, v6 :: v_dual_add_f32 v9, v7, v1
	v_dual_sub_f32 v15, v0, v6 :: v_dual_sub_f32 v0, v1, v7
	s_wait_loadcnt 0x1
	s_delay_alu instid0(VALU_DEP_1) | instskip(NEXT) | instid1(VALU_DEP_2)
	v_fma_f32 v6, -v15, v11, v8
	v_fma_f32 v1, v9, v11, v0
	v_fma_f32 v7, v9, v11, -v0
	s_delay_alu instid0(VALU_DEP_3) | instskip(SKIP_1) | instid1(VALU_DEP_4)
	v_fmac_f32_e32 v6, v10, v9
	v_fma_f32 v18, v15, v11, v8
	v_fmac_f32_e32 v1, v15, v10
	s_delay_alu instid0(VALU_DEP_4) | instskip(SKIP_1) | instid1(VALU_DEP_4)
	v_fmac_f32_e32 v7, v15, v10
	v_add3_u32 v15, 0, v5, v24
	v_fma_f32 v0, -v10, v9, v18
	ds_store_b64 v23, v[0:1] offset:960
	ds_store_b64 v4, v[6:7] offset:2240
	ds_load_b64 v[0:1], v23 offset:1280
	ds_load_b64 v[6:7], v4 offset:1920
	v_add_nc_u32_e32 v22, 0x400, v15
	v_mad_u32_u24 v36, v14, 24, v15
	s_wait_dscnt 0x0
	v_dual_add_f32 v8, v0, v6 :: v_dual_add_nc_u32 v21, 0x800, v15
	v_dual_add_f32 v9, v7, v1 :: v_dual_sub_f32 v10, v0, v6
	v_sub_f32_e32 v0, v1, v7
	s_wait_loadcnt 0x0
	s_delay_alu instid0(VALU_DEP_2) | instskip(NEXT) | instid1(VALU_DEP_2)
	v_fma_f32 v11, v10, v3, v8
	v_fma_f32 v1, v9, v3, v0
	v_fma_f32 v6, -v10, v3, v8
	s_delay_alu instid0(VALU_DEP_2) | instskip(SKIP_2) | instid1(VALU_DEP_4)
	v_fmac_f32_e32 v1, v10, v2
	v_fma_f32 v7, v9, v3, -v0
	v_fma_f32 v0, -v2, v9, v11
	v_fmac_f32_e32 v6, v2, v9
	s_delay_alu instid0(VALU_DEP_3)
	v_fmac_f32_e32 v7, v10, v2
	ds_store_b64 v23, v[0:1] offset:1280
	ds_store_b64 v4, v[6:7] offset:1920
	global_wb scope:SCOPE_SE
	s_wait_dscnt 0x0
	s_barrier_signal -1
	s_barrier_wait -1
	global_inv scope:SCOPE_SE
	global_wb scope:SCOPE_SE
	s_barrier_signal -1
	s_barrier_wait -1
	global_inv scope:SCOPE_SE
	ds_load_2addr_b64 v[0:3], v15 offset0:180 offset1:200
	ds_load_b64 v[34:35], v23
	ds_load_2addr_b64 v[26:29], v15 offset0:100 offset1:140
	ds_load_2addr_b64 v[30:33], v21 offset0:44 offset1:84
	;; [unrolled: 1-line block ×4, first 2 shown]
	v_lshlrev_b32_e32 v18, 5, v14
	s_wait_dscnt 0x4
	v_dual_sub_f32 v37, v34, v2 :: v_dual_sub_f32 v38, v35, v3
	s_wait_dscnt 0x2
	v_dual_sub_f32 v2, v27, v31 :: v_dual_sub_f32 v3, v26, v30
	s_wait_dscnt 0x0
	v_sub_f32_e32 v31, v5, v9
	v_add3_u32 v25, v18, 0, v24
	ds_load_b64 v[18:19], v15 offset:3040
	v_sub_f32_e32 v30, v4, v8
	v_sub_f32_e32 v8, v28, v32
	v_fma_f32 v32, v34, 2.0, -v37
	v_fma_f32 v26, v26, 2.0, -v3
	v_sub_f32_e32 v9, v29, v33
	v_fma_f32 v33, v35, 2.0, -v38
	v_fma_f32 v27, v27, 2.0, -v2
	;; [unrolled: 1-line block ×5, first 2 shown]
	v_dual_add_f32 v5, v31, v8 :: v_dual_sub_f32 v8, v32, v26
	v_fma_f32 v29, v29, 2.0, -v9
	v_dual_sub_f32 v2, v37, v2 :: v_dual_add_f32 v3, v38, v3
	v_dual_sub_f32 v4, v30, v9 :: v_dual_sub_f32 v9, v33, v27
	s_delay_alu instid0(VALU_DEP_3) | instskip(NEXT) | instid1(VALU_DEP_3)
	v_dual_sub_f32 v28, v34, v28 :: v_dual_sub_f32 v29, v35, v29
	v_fma_f32 v26, v37, 2.0, -v2
	s_delay_alu instid0(VALU_DEP_4)
	v_fma_f32 v27, v38, 2.0, -v3
	v_fma_f32 v32, v32, 2.0, -v8
	;; [unrolled: 1-line block ×7, first 2 shown]
	global_wb scope:SCOPE_SE
	s_wait_dscnt 0x0
	s_barrier_signal -1
	s_barrier_wait -1
	global_inv scope:SCOPE_SE
	ds_store_2addr_b64 v36, v[32:33], v[26:27] offset1:1
	ds_store_2addr_b64 v36, v[8:9], v[2:3] offset0:2 offset1:3
	ds_store_2addr_b64 v25, v[34:35], v[30:31] offset0:160 offset1:161
	;; [unrolled: 1-line block ×3, first 2 shown]
	s_and_saveexec_b32 s1, s0
	s_cbranch_execz .LBB0_20
; %bb.19:
	v_dual_sub_f32 v4, v7, v11 :: v_dual_sub_f32 v3, v0, v18
	v_sub_f32_e32 v8, v6, v10
	s_delay_alu instid0(VALU_DEP_2) | instskip(SKIP_1) | instid1(VALU_DEP_4)
	v_fma_f32 v7, v7, 2.0, -v4
	v_sub_f32_e32 v2, v1, v19
	v_fma_f32 v9, v0, 2.0, -v3
	s_delay_alu instid0(VALU_DEP_2) | instskip(SKIP_2) | instid1(VALU_DEP_3)
	v_fma_f32 v5, v1, 2.0, -v2
	v_add_f32_e32 v1, v4, v3
	v_fma_f32 v6, v6, 2.0, -v8
	v_dual_sub_f32 v3, v7, v5 :: v_dual_sub_f32 v0, v8, v2
	s_delay_alu instid0(VALU_DEP_2) | instskip(SKIP_2) | instid1(VALU_DEP_4)
	v_sub_f32_e32 v2, v6, v9
	v_add_nc_u32_e32 v9, 0xa10, v25
	v_fma_f32 v5, v4, 2.0, -v1
	v_fma_f32 v7, v7, 2.0, -v3
	;; [unrolled: 1-line block ×4, first 2 shown]
	v_add_nc_u32_e32 v8, 0xa00, v25
	ds_store_2addr_b64 v8, v[6:7], v[4:5] offset1:1
	ds_store_2addr_b64 v9, v[2:3], v[0:1] offset1:1
.LBB0_20:
	s_wait_alu 0xfffe
	s_or_b32 exec_lo, exec_lo, s1
	v_and_b32_e32 v41, 3, v14
	global_wb scope:SCOPE_SE
	s_wait_dscnt 0x0
	s_barrier_signal -1
	s_barrier_wait -1
	global_inv scope:SCOPE_SE
	v_mul_u32_u24_e32 v0, 9, v41
	v_lshrrev_b32_e32 v37, 2, v14
	v_mul_u32_u24_e32 v49, 9, v14
	s_delay_alu instid0(VALU_DEP_3) | instskip(NEXT) | instid1(VALU_DEP_3)
	v_lshlrev_b32_e32 v18, 3, v0
	v_mul_u32_u24_e32 v42, 40, v37
	s_clause 0x4
	global_load_b128 v[0:3], v18, s[8:9]
	global_load_b128 v[4:7], v18, s[8:9] offset:16
	global_load_b128 v[8:11], v18, s[8:9] offset:32
	;; [unrolled: 1-line block ×3, first 2 shown]
	global_load_b64 v[18:19], v18, s[8:9] offset:64
	ds_load_2addr_b64 v[29:32], v15 offset0:40 offset1:80
	ds_load_2addr_b64 v[33:36], v15 offset0:120 offset1:160
	;; [unrolled: 1-line block ×3, first 2 shown]
	v_or_b32_e32 v50, v42, v41
	ds_load_2addr_b64 v[41:44], v21 offset0:24 offset1:64
	ds_load_b64 v[45:46], v23
	ds_load_b64 v[47:48], v15 offset:2880
	v_lshlrev_b32_e32 v49, 3, v49
	global_wb scope:SCOPE_SE
	s_wait_loadcnt_dscnt 0x0
	s_barrier_signal -1
	v_lshlrev_b32_e32 v50, 3, v50
	s_barrier_wait -1
	global_inv scope:SCOPE_SE
	v_add3_u32 v50, 0, v50, v24
	v_mul_f32_e32 v24, v1, v30
	v_mul_f32_e32 v51, v1, v29
	;; [unrolled: 1-line block ×3, first 2 shown]
	v_dual_mul_f32 v3, v3, v31 :: v_dual_mul_f32 v52, v5, v34
	v_dual_mul_f32 v5, v5, v33 :: v_dual_mul_f32 v56, v42, v26
	;; [unrolled: 1-line block ×4, first 2 shown]
	v_mul_f32_e32 v55, v40, v11
	v_dual_mul_f32 v9, v9, v37 :: v_dual_mul_f32 v58, v48, v19
	v_fma_f32 v24, v0, v29, -v24
	v_fmac_f32_e32 v51, v0, v30
	v_fma_f32 v0, v2, v31, -v1
	v_mul_f32_e32 v11, v39, v11
	v_fmac_f32_e32 v3, v2, v32
	v_fma_f32 v1, v4, v33, -v52
	v_fmac_f32_e32 v5, v4, v34
	v_fma_f32 v2, v6, v35, -v53
	;; [unrolled: 2-line block ×4, first 2 shown]
	v_mul_f32_e32 v19, v47, v19
	v_fmac_f32_e32 v9, v8, v38
	v_fma_f32 v8, v41, v25, -v56
	v_fma_f32 v25, v47, v18, -v58
	s_delay_alu instid0(VALU_DEP_4)
	v_dual_sub_f32 v52, v1, v4 :: v_dual_fmac_f32 v19, v48, v18
	v_dual_add_f32 v18, v45, v0 :: v_dual_fmac_f32 v11, v40, v10
	v_mul_f32_e32 v57, v44, v28
	v_mul_f32_e32 v28, v43, v28
	v_sub_f32_e32 v34, v2, v0
	v_sub_f32_e32 v38, v2, v6
	;; [unrolled: 1-line block ×3, first 2 shown]
	v_fma_f32 v10, v43, v27, -v57
	v_fmac_f32_e32 v28, v44, v27
	v_add_f32_e32 v36, v46, v3
	v_dual_add_f32 v27, v2, v6 :: v_dual_add_f32 v44, v4, v8
	s_delay_alu instid0(VALU_DEP_4) | instskip(NEXT) | instid1(VALU_DEP_4)
	v_sub_f32_e32 v32, v10, v6
	v_sub_f32_e32 v40, v28, v11
	v_dual_sub_f32 v42, v11, v28 :: v_dual_sub_f32 v31, v0, v2
	v_sub_f32_e32 v60, v5, v9
	v_add_f32_e32 v43, v24, v1
	v_sub_f32_e32 v29, v3, v28
	v_sub_f32_e32 v35, v6, v10
	v_dual_add_f32 v41, v3, v28 :: v_dual_add_f32 v58, v9, v26
	v_dual_add_f32 v54, v1, v25 :: v_dual_add_f32 v33, v0, v10
	v_add_f32_e32 v62, v5, v19
	v_dual_sub_f32 v0, v0, v10 :: v_dual_add_f32 v37, v7, v11
	v_dual_sub_f32 v48, v9, v26 :: v_dual_sub_f32 v39, v3, v7
	v_dual_sub_f32 v56, v8, v25 :: v_dual_sub_f32 v3, v7, v3
	v_dual_add_f32 v2, v18, v2 :: v_dual_sub_f32 v59, v4, v8
	v_dual_add_f32 v18, v31, v32 :: v_dual_sub_f32 v55, v4, v1
	;; [unrolled: 1-line block ×3, first 2 shown]
	v_dual_sub_f32 v53, v25, v8 :: v_dual_add_f32 v32, v34, v35
	v_add_f32_e32 v57, v51, v5
	v_dual_sub_f32 v1, v1, v25 :: v_dual_add_f32 v2, v2, v6
	v_fma_f32 v27, -0.5, v27, v45
	v_fma_f32 v31, -0.5, v33, v45
	;; [unrolled: 1-line block ×3, first 2 shown]
	v_dual_fmac_f32 v46, -0.5, v41 :: v_dual_add_f32 v7, v36, v7
	v_dual_add_f32 v3, v3, v42 :: v_dual_add_f32 v4, v4, v8
	v_fma_f32 v35, -0.5, v44, v24
	v_dual_fmac_f32 v24, -0.5, v54 :: v_dual_sub_f32 v5, v9, v5
	v_fmamk_f32 v42, v30, 0xbf737871, v31
	v_add_f32_e32 v34, v39, v40
	v_fma_f32 v39, -0.5, v58, v51
	s_delay_alu instid0(VALU_DEP_4)
	v_dual_fmac_f32 v51, -0.5, v62 :: v_dual_fmamk_f32 v8, v48, 0xbf737871, v24
	v_dual_fmamk_f32 v41, v29, 0x3f737871, v27 :: v_dual_add_f32 v2, v2, v10
	v_dual_fmac_f32 v31, 0x3f737871, v30 :: v_dual_add_f32 v4, v4, v25
	v_dual_fmamk_f32 v44, v38, 0x3f737871, v46 :: v_dual_add_f32 v9, v57, v9
	v_add_f32_e32 v6, v7, v11
	v_fmamk_f32 v7, v47, 0x3f737871, v35
	v_dual_sub_f32 v61, v19, v26 :: v_dual_add_f32 v36, v52, v53
	v_sub_f32_e32 v63, v26, v19
	v_dual_add_f32 v37, v55, v56 :: v_dual_fmac_f32 v46, 0xbf737871, v38
	v_dual_add_f32 v9, v9, v26 :: v_dual_fmamk_f32 v26, v59, 0x3f737871, v51
	v_dual_fmac_f32 v7, 0x3f167918, v48 :: v_dual_fmac_f32 v8, 0x3f167918, v47
	s_delay_alu instid0(VALU_DEP_4) | instskip(SKIP_1) | instid1(VALU_DEP_3)
	v_dual_add_f32 v40, v60, v61 :: v_dual_add_f32 v5, v5, v63
	v_fmac_f32_e32 v24, 0x3f737871, v48
	v_dual_fmac_f32 v7, 0x3e9e377a, v36 :: v_dual_fmac_f32 v8, 0x3e9e377a, v37
	v_fmac_f32_e32 v26, 0xbf167918, v1
	v_dual_fmac_f32 v27, 0xbf737871, v29 :: v_dual_add_f32 v6, v6, v28
	v_dual_fmac_f32 v41, 0x3f167918, v30 :: v_dual_fmac_f32 v42, 0x3f167918, v29
	s_delay_alu instid0(VALU_DEP_4) | instskip(NEXT) | instid1(VALU_DEP_4)
	v_mul_f32_e32 v25, 0xbf167918, v7
	v_fmac_f32_e32 v26, 0x3e9e377a, v5
	s_delay_alu instid0(VALU_DEP_4)
	v_dual_fmac_f32 v27, 0xbf167918, v30 :: v_dual_fmac_f32 v44, 0xbf167918, v0
	v_dual_fmac_f32 v46, 0x3f167918, v0 :: v_dual_add_f32 v9, v9, v19
	v_dual_fmac_f32 v41, 0x3e9e377a, v18 :: v_dual_fmac_f32 v42, 0x3e9e377a, v32
	v_fmac_f32_e32 v51, 0xbf737871, v59
	v_mul_f32_e32 v19, 0x3f737871, v26
	v_dual_fmac_f32 v31, 0xbf167918, v29 :: v_dual_fmac_f32 v24, 0xbf167918, v47
	v_dual_fmac_f32 v27, 0x3e9e377a, v18 :: v_dual_fmac_f32 v44, 0x3e9e377a, v3
	s_delay_alu instid0(VALU_DEP_4) | instskip(NEXT) | instid1(VALU_DEP_4)
	v_fmac_f32_e32 v51, 0x3f167918, v1
	v_fmac_f32_e32 v19, 0x3e9e377a, v8
	v_fmamk_f32 v11, v1, 0xbf737871, v39
	v_fmac_f32_e32 v39, 0x3f737871, v1
	v_fmac_f32_e32 v24, 0x3e9e377a, v37
	;; [unrolled: 1-line block ×3, first 2 shown]
	v_dual_fmac_f32 v31, 0x3e9e377a, v32 :: v_dual_fmac_f32 v46, 0x3e9e377a, v3
	s_delay_alu instid0(VALU_DEP_4) | instskip(SKIP_1) | instid1(VALU_DEP_4)
	v_fmac_f32_e32 v39, 0x3f167918, v59
	v_add_f32_e32 v1, v6, v9
	v_dual_sub_f32 v3, v6, v9 :: v_dual_mul_f32 v6, 0x3e9e377a, v51
	v_fmamk_f32 v43, v0, 0xbf737871, v33
	s_delay_alu instid0(VALU_DEP_4) | instskip(SKIP_1) | instid1(VALU_DEP_4)
	v_fmac_f32_e32 v39, 0x3e9e377a, v40
	v_mul_f32_e32 v29, 0xbf737871, v8
	v_fma_f32 v32, 0xbf737871, v24, -v6
	v_add_f32_e32 v6, v42, v19
	v_fmac_f32_e32 v11, 0xbf167918, v59
	v_mul_f32_e32 v9, 0x3f4f1bbd, v39
	v_fmac_f32_e32 v29, 0x3e9e377a, v26
	s_delay_alu instid0(VALU_DEP_3) | instskip(NEXT) | instid1(VALU_DEP_1)
	v_fmac_f32_e32 v11, 0x3e9e377a, v40
	v_mul_f32_e32 v18, 0x3f167918, v11
	v_fmac_f32_e32 v25, 0x3f4f1bbd, v11
	s_delay_alu instid0(VALU_DEP_2)
	v_fmac_f32_e32 v18, 0x3f4f1bbd, v7
	v_fmac_f32_e32 v33, 0x3f737871, v0
	v_add_f32_e32 v0, v2, v4
	v_sub_f32_e32 v2, v2, v4
	v_mul_f32_e32 v4, 0x3e9e377a, v24
	v_dual_fmac_f32 v43, 0xbf167918, v38 :: v_dual_sub_f32 v24, v42, v19
	v_add_f32_e32 v7, v44, v29
	s_delay_alu instid0(VALU_DEP_3) | instskip(SKIP_2) | instid1(VALU_DEP_3)
	v_fma_f32 v28, 0x3f737871, v51, -v4
	v_dual_fmac_f32 v35, 0xbf737871, v47 :: v_dual_add_f32 v4, v41, v18
	v_fmac_f32_e32 v33, 0x3f167918, v38
	v_dual_fmac_f32 v43, 0x3e9e377a, v34 :: v_dual_add_f32 v8, v31, v28
	s_delay_alu instid0(VALU_DEP_3) | instskip(NEXT) | instid1(VALU_DEP_3)
	v_fmac_f32_e32 v35, 0xbf167918, v48
	v_dual_sub_f32 v26, v31, v28 :: v_dual_fmac_f32 v33, 0x3e9e377a, v34
	s_delay_alu instid0(VALU_DEP_3) | instskip(NEXT) | instid1(VALU_DEP_3)
	v_dual_sub_f32 v18, v41, v18 :: v_dual_sub_f32 v19, v43, v25
	v_fmac_f32_e32 v35, 0x3e9e377a, v36
	s_delay_alu instid0(VALU_DEP_1) | instskip(SKIP_2) | instid1(VALU_DEP_3)
	v_mul_f32_e32 v5, 0x3f4f1bbd, v35
	v_fma_f32 v34, 0xbf167918, v35, -v9
	v_add_f32_e32 v9, v46, v32
	v_fma_f32 v30, 0x3f167918, v39, -v5
	v_add_f32_e32 v5, v43, v25
	s_delay_alu instid0(VALU_DEP_4)
	v_add_f32_e32 v11, v33, v34
	v_sub_f32_e32 v25, v44, v29
	v_sub_f32_e32 v29, v33, v34
	v_add_f32_e32 v10, v27, v30
	v_dual_sub_f32 v28, v27, v30 :: v_dual_sub_f32 v27, v46, v32
	ds_store_2addr_b64 v50, v[0:1], v[4:5] offset1:4
	ds_store_2addr_b64 v50, v[6:7], v[8:9] offset0:8 offset1:12
	ds_store_2addr_b64 v50, v[10:11], v[2:3] offset0:16 offset1:20
	ds_store_2addr_b64 v50, v[18:19], v[24:25] offset0:24 offset1:28
	ds_store_2addr_b64 v50, v[26:27], v[28:29] offset0:32 offset1:36
	global_wb scope:SCOPE_SE
	s_wait_dscnt 0x0
	s_barrier_signal -1
	s_barrier_wait -1
	global_inv scope:SCOPE_SE
	s_clause 0x4
	global_load_b128 v[0:3], v49, s[8:9] offset:288
	global_load_b128 v[4:7], v49, s[8:9] offset:304
	;; [unrolled: 1-line block ×4, first 2 shown]
	global_load_b64 v[18:19], v49, s[8:9] offset:352
	ds_load_2addr_b64 v[28:31], v15 offset0:40 offset1:80
	ds_load_2addr_b64 v[32:35], v15 offset0:120 offset1:160
	;; [unrolled: 1-line block ×4, first 2 shown]
	ds_load_b64 v[44:45], v23
	ds_load_b64 v[46:47], v15 offset:2880
	global_wb scope:SCOPE_SE
	s_wait_loadcnt_dscnt 0x0
	s_barrier_signal -1
	s_barrier_wait -1
	global_inv scope:SCOPE_SE
	v_mul_f32_e32 v23, v1, v29
	v_dual_mul_f32 v48, v1, v28 :: v_dual_mul_f32 v1, v3, v31
	v_mul_f32_e32 v53, v41, v25
	v_mul_f32_e32 v25, v40, v25
	;; [unrolled: 1-line block ×6, first 2 shown]
	v_dual_fmac_f32 v25, v41, v24 :: v_dual_mul_f32 v50, v7, v35
	s_delay_alu instid0(VALU_DEP_4) | instskip(SKIP_1) | instid1(VALU_DEP_4)
	v_fmac_f32_e32 v19, v47, v18
	v_mul_f32_e32 v3, v3, v30
	v_fmac_f32_e32 v27, v43, v26
	v_mul_f32_e32 v7, v7, v34
	v_mul_f32_e32 v52, v39, v11
	v_sub_f32_e32 v60, v25, v19
	v_fmac_f32_e32 v3, v2, v31
	v_fma_f32 v23, v0, v28, -v23
	v_fmac_f32_e32 v48, v0, v29
	v_fma_f32 v0, v2, v30, -v1
	v_fma_f32 v2, v6, v34, -v50
	v_sub_f32_e32 v28, v3, v27
	v_mul_f32_e32 v11, v38, v11
	v_fmac_f32_e32 v7, v6, v35
	v_fma_f32 v6, v38, v10, -v52
	v_sub_f32_e32 v30, v0, v2
	v_sub_f32_e32 v58, v19, v25
	v_fmac_f32_e32 v11, v39, v10
	v_fma_f32 v10, v42, v26, -v54
	s_delay_alu instid0(VALU_DEP_2) | instskip(NEXT) | instid1(VALU_DEP_2)
	v_dual_add_f32 v26, v2, v6 :: v_dual_sub_f32 v29, v7, v11
	v_sub_f32_e32 v31, v10, v6
	v_mul_f32_e32 v49, v5, v33
	v_mul_f32_e32 v5, v5, v32
	s_delay_alu instid0(VALU_DEP_4) | instskip(SKIP_1) | instid1(VALU_DEP_4)
	v_fma_f32 v26, -0.5, v26, v44
	v_sub_f32_e32 v34, v6, v10
	v_fma_f32 v1, v4, v32, -v49
	s_delay_alu instid0(VALU_DEP_4) | instskip(SKIP_1) | instid1(VALU_DEP_2)
	v_fmac_f32_e32 v5, v4, v33
	v_add_f32_e32 v32, v0, v10
	v_dual_add_f32 v42, v23, v1 :: v_dual_add_f32 v59, v5, v19
	v_mul_f32_e32 v51, v9, v37
	s_delay_alu instid0(VALU_DEP_1) | instskip(NEXT) | instid1(VALU_DEP_1)
	v_fma_f32 v4, v8, v36, -v51
	v_dual_sub_f32 v52, v4, v1 :: v_dual_mul_f32 v9, v9, v36
	v_dual_sub_f32 v49, v1, v4 :: v_dual_add_f32 v36, v7, v11
	s_delay_alu instid0(VALU_DEP_2) | instskip(SKIP_3) | instid1(VALU_DEP_3)
	v_fmac_f32_e32 v9, v8, v37
	v_fma_f32 v8, v40, v24, -v53
	v_fma_f32 v24, v46, v18, -v55
	v_add_f32_e32 v18, v44, v0
	v_add_f32_e32 v43, v4, v8
	v_sub_f32_e32 v56, v4, v8
	v_add_f32_e32 v4, v42, v4
	v_sub_f32_e32 v50, v24, v8
	s_delay_alu instid0(VALU_DEP_2) | instskip(SKIP_2) | instid1(VALU_DEP_3)
	v_dual_add_f32 v4, v4, v8 :: v_dual_sub_f32 v37, v2, v6
	v_add_f32_e32 v40, v3, v27
	v_sub_f32_e32 v38, v3, v7
	v_add_f32_e32 v4, v4, v24
	v_dual_sub_f32 v33, v2, v0 :: v_dual_sub_f32 v0, v0, v10
	v_add_f32_e32 v2, v18, v2
	v_add_f32_e32 v18, v30, v31
	v_fma_f32 v30, -0.5, v32, v44
	v_fma_f32 v32, -0.5, v36, v45
	s_delay_alu instid0(VALU_DEP_4) | instskip(NEXT) | instid1(VALU_DEP_2)
	v_dual_add_f32 v51, v1, v24 :: v_dual_add_f32 v2, v2, v6
	v_fmamk_f32 v42, v0, 0xbf737871, v32
	v_dual_fmac_f32 v32, 0x3f737871, v0 :: v_dual_add_f32 v35, v45, v3
	v_dual_fmac_f32 v45, -0.5, v40 :: v_dual_fmamk_f32 v40, v28, 0x3f737871, v26
	s_delay_alu instid0(VALU_DEP_3) | instskip(SKIP_2) | instid1(VALU_DEP_4)
	v_dual_sub_f32 v3, v7, v3 :: v_dual_fmac_f32 v42, 0xbf167918, v37
	v_sub_f32_e32 v1, v1, v24
	v_fmac_f32_e32 v26, 0xbf737871, v28
	v_dual_fmac_f32 v40, 0x3f167918, v29 :: v_dual_sub_f32 v41, v11, v27
	v_dual_add_f32 v2, v2, v10 :: v_dual_sub_f32 v47, v9, v25
	v_fmac_f32_e32 v32, 0x3f167918, v37
	s_delay_alu instid0(VALU_DEP_3) | instskip(NEXT) | instid1(VALU_DEP_4)
	v_dual_fmac_f32 v40, 0x3e9e377a, v18 :: v_dual_add_f32 v7, v35, v7
	v_add_f32_e32 v3, v3, v41
	v_fmamk_f32 v41, v29, 0xbf737871, v30
	v_dual_fmac_f32 v30, 0x3f737871, v29 :: v_dual_add_f32 v31, v33, v34
	s_delay_alu instid0(VALU_DEP_4) | instskip(NEXT) | instid1(VALU_DEP_3)
	v_add_f32_e32 v6, v7, v11
	v_dual_add_f32 v54, v48, v5 :: v_dual_fmac_f32 v41, 0x3f167918, v28
	s_delay_alu instid0(VALU_DEP_3) | instskip(SKIP_1) | instid1(VALU_DEP_4)
	v_fmac_f32_e32 v30, 0xbf167918, v28
	v_fmac_f32_e32 v26, 0xbf167918, v29
	v_add_f32_e32 v6, v6, v27
	v_fma_f32 v34, -0.5, v43, v23
	v_dual_sub_f32 v46, v5, v19 :: v_dual_sub_f32 v53, v8, v24
	v_fmac_f32_e32 v30, 0x3e9e377a, v31
	v_dual_fmac_f32 v26, 0x3e9e377a, v18 :: v_dual_fmac_f32 v23, -0.5, v51
	s_delay_alu instid0(VALU_DEP_3) | instskip(SKIP_1) | instid1(VALU_DEP_3)
	v_dual_fmamk_f32 v7, v46, 0x3f737871, v34 :: v_dual_add_f32 v36, v52, v53
	v_fmac_f32_e32 v34, 0xbf737871, v46
	v_fmamk_f32 v8, v47, 0xbf737871, v23
	v_fmac_f32_e32 v23, 0x3f737871, v47
	v_sub_f32_e32 v39, v27, v11
	s_delay_alu instid0(VALU_DEP_4) | instskip(NEXT) | instid1(VALU_DEP_4)
	v_fmac_f32_e32 v34, 0xbf167918, v47
	v_dual_fmac_f32 v7, 0x3f167918, v47 :: v_dual_fmac_f32 v8, 0x3f167918, v46
	s_delay_alu instid0(VALU_DEP_4) | instskip(NEXT) | instid1(VALU_DEP_2)
	v_fmac_f32_e32 v23, 0xbf167918, v46
	v_dual_sub_f32 v57, v5, v9 :: v_dual_fmac_f32 v8, 0x3e9e377a, v36
	s_delay_alu instid0(VALU_DEP_2) | instskip(SKIP_2) | instid1(VALU_DEP_4)
	v_fmac_f32_e32 v23, 0x3e9e377a, v36
	v_add_f32_e32 v35, v49, v50
	v_add_f32_e32 v55, v9, v25
	v_dual_add_f32 v33, v38, v39 :: v_dual_mul_f32 v28, 0xbf737871, v8
	s_delay_alu instid0(VALU_DEP_3) | instskip(NEXT) | instid1(VALU_DEP_3)
	v_dual_add_f32 v39, v57, v58 :: v_dual_fmac_f32 v34, 0x3e9e377a, v35
	v_fma_f32 v38, -0.5, v55, v48
	s_delay_alu instid0(VALU_DEP_3) | instskip(SKIP_2) | instid1(VALU_DEP_4)
	v_fmac_f32_e32 v42, 0x3e9e377a, v33
	v_fmac_f32_e32 v32, 0x3e9e377a, v33
	v_fmac_f32_e32 v48, -0.5, v59
	v_fmamk_f32 v11, v1, 0xbf737871, v38
	v_fmac_f32_e32 v38, 0x3f737871, v1
	s_delay_alu instid0(VALU_DEP_2) | instskip(NEXT) | instid1(VALU_DEP_2)
	v_fmac_f32_e32 v11, 0xbf167918, v56
	v_fmac_f32_e32 v38, 0x3f167918, v56
	s_delay_alu instid0(VALU_DEP_2) | instskip(NEXT) | instid1(VALU_DEP_1)
	v_fmac_f32_e32 v11, 0x3e9e377a, v39
	v_mul_f32_e32 v18, 0x3f167918, v11
	v_fmamk_f32 v43, v37, 0x3f737871, v45
	v_fmac_f32_e32 v45, 0xbf737871, v37
	s_delay_alu instid0(VALU_DEP_2) | instskip(NEXT) | instid1(VALU_DEP_2)
	v_fmac_f32_e32 v43, 0xbf167918, v0
	v_fmac_f32_e32 v45, 0x3f167918, v0
	v_add_f32_e32 v0, v2, v4
	v_sub_f32_e32 v2, v2, v4
	v_mul_f32_e32 v4, 0x3e9e377a, v23
	v_fmac_f32_e32 v7, 0x3e9e377a, v35
	v_fmac_f32_e32 v43, 0x3e9e377a, v3
	;; [unrolled: 1-line block ×3, first 2 shown]
	s_delay_alu instid0(VALU_DEP_3) | instskip(SKIP_1) | instid1(VALU_DEP_2)
	v_dual_fmac_f32 v18, 0x3f4f1bbd, v7 :: v_dual_sub_f32 v5, v9, v5
	v_dual_fmac_f32 v38, 0x3e9e377a, v39 :: v_dual_add_f32 v9, v54, v9
	v_dual_mul_f32 v24, 0xbf167918, v7 :: v_dual_add_f32 v5, v5, v60
	s_delay_alu instid0(VALU_DEP_2) | instskip(SKIP_2) | instid1(VALU_DEP_4)
	v_add_f32_e32 v9, v9, v25
	v_fmamk_f32 v25, v56, 0x3f737871, v48
	v_fmac_f32_e32 v48, 0xbf737871, v56
	v_fmac_f32_e32 v24, 0x3f4f1bbd, v11
	s_delay_alu instid0(VALU_DEP_3) | instskip(NEXT) | instid1(VALU_DEP_3)
	v_fmac_f32_e32 v25, 0xbf167918, v1
	v_fmac_f32_e32 v48, 0x3f167918, v1
	s_delay_alu instid0(VALU_DEP_2) | instskip(NEXT) | instid1(VALU_DEP_2)
	v_fmac_f32_e32 v25, 0x3e9e377a, v5
	v_dual_add_f32 v9, v9, v19 :: v_dual_fmac_f32 v48, 0x3e9e377a, v5
	v_mul_f32_e32 v5, 0x3f4f1bbd, v34
	s_delay_alu instid0(VALU_DEP_3) | instskip(NEXT) | instid1(VALU_DEP_3)
	v_dual_fmac_f32 v41, 0x3e9e377a, v31 :: v_dual_fmac_f32 v28, 0x3e9e377a, v25
	v_add_f32_e32 v1, v6, v9
	v_sub_f32_e32 v3, v6, v9
	v_mul_f32_e32 v19, 0x3f737871, v25
	v_mul_f32_e32 v6, 0x3e9e377a, v48
	;; [unrolled: 1-line block ×3, first 2 shown]
	v_fma_f32 v27, 0x3f737871, v48, -v4
	v_fma_f32 v29, 0x3f167918, v38, -v5
	v_fmac_f32_e32 v19, 0x3e9e377a, v8
	v_fma_f32 v31, 0xbf737871, v23, -v6
	v_fma_f32 v33, 0xbf167918, v34, -v9
	v_dual_add_f32 v4, v40, v18 :: v_dual_add_f32 v5, v42, v24
	s_delay_alu instid0(VALU_DEP_4)
	v_add_f32_e32 v6, v41, v19
	v_dual_add_f32 v8, v30, v27 :: v_dual_add_f32 v7, v43, v28
	v_dual_add_f32 v9, v45, v31 :: v_dual_add_f32 v10, v26, v29
	v_add_f32_e32 v11, v32, v33
	v_dual_sub_f32 v18, v40, v18 :: v_dual_sub_f32 v23, v41, v19
	v_sub_f32_e32 v19, v42, v24
	v_dual_sub_f32 v24, v43, v28 :: v_dual_sub_f32 v25, v30, v27
	v_dual_sub_f32 v27, v26, v29 :: v_dual_sub_f32 v26, v45, v31
	v_sub_f32_e32 v28, v32, v33
	ds_store_2addr_b64 v15, v[0:1], v[4:5] offset1:40
	ds_store_2addr_b64 v15, v[6:7], v[8:9] offset0:80 offset1:120
	ds_store_2addr_b64 v15, v[10:11], v[2:3] offset0:160 offset1:200
	;; [unrolled: 1-line block ×4, first 2 shown]
	global_wb scope:SCOPE_SE
	s_wait_dscnt 0x0
	s_barrier_signal -1
	s_barrier_wait -1
	global_inv scope:SCOPE_SE
	s_and_saveexec_b32 s0, vcc_lo
	s_cbranch_execz .LBB0_22
; %bb.21:
	v_mul_lo_u32 v0, s3, v16
	v_mul_lo_u32 v1, s2, v17
	v_mad_co_u64_u32 v[4:5], null, s2, v16, 0
	v_dual_mov_b32 v15, 0 :: v_dual_add_nc_u32 v10, 40, v14
	v_lshl_add_u32 v22, v14, 3, v20
	v_lshlrev_b64_e32 v[8:9], 3, v[12:13]
	s_delay_alu instid0(VALU_DEP_3)
	v_dual_mov_b32 v11, v15 :: v_dual_add_nc_u32 v12, 0x50, v14
	v_add3_u32 v5, v5, v1, v0
	ds_load_2addr_b64 v[0:3], v22 offset1:40
	v_lshlrev_b64_e32 v[18:19], 3, v[14:15]
	v_mov_b32_e32 v13, v15
	v_lshlrev_b64_e32 v[10:11], 3, v[10:11]
	v_lshlrev_b64_e32 v[16:17], 3, v[4:5]
	ds_load_2addr_b64 v[4:7], v22 offset0:80 offset1:120
	v_dual_mov_b32 v21, v15 :: v_dual_add_nc_u32 v20, 0x140, v14
	v_add_co_u32 v16, vcc_lo, s6, v16
	s_wait_alu 0xfffd
	v_add_co_ci_u32_e32 v17, vcc_lo, s7, v17, vcc_lo
	s_delay_alu instid0(VALU_DEP_3) | instskip(NEXT) | instid1(VALU_DEP_3)
	v_lshlrev_b64_e32 v[20:21], 3, v[20:21]
	v_add_co_u32 v24, vcc_lo, v16, v8
	s_wait_alu 0xfffd
	s_delay_alu instid0(VALU_DEP_3)
	v_add_co_ci_u32_e32 v25, vcc_lo, v17, v9, vcc_lo
	v_dual_mov_b32 v17, v15 :: v_dual_add_nc_u32 v16, 0x78, v14
	v_lshlrev_b64_e32 v[8:9], 3, v[12:13]
	v_add_co_u32 v12, vcc_lo, v24, v18
	v_add_nc_u32_e32 v18, 0xa0, v14
	s_wait_alu 0xfffd
	v_add_co_ci_u32_e32 v13, vcc_lo, v25, v19, vcc_lo
	v_add_co_u32 v10, vcc_lo, v24, v10
	v_lshlrev_b64_e32 v[16:17], 3, v[16:17]
	s_wait_alu 0xfffd
	v_add_co_ci_u32_e32 v11, vcc_lo, v25, v11, vcc_lo
	v_add_co_u32 v8, vcc_lo, v24, v8
	s_wait_alu 0xfffd
	v_add_co_ci_u32_e32 v9, vcc_lo, v25, v9, vcc_lo
	v_add_co_u32 v16, vcc_lo, v24, v16
	v_mov_b32_e32 v19, v15
	s_wait_alu 0xfffd
	v_add_co_ci_u32_e32 v17, vcc_lo, v25, v17, vcc_lo
	s_wait_dscnt 0x1
	s_clause 0x1
	global_store_b64 v[12:13], v[0:1], off
	global_store_b64 v[10:11], v[2:3], off
	s_wait_dscnt 0x0
	s_clause 0x1
	global_store_b64 v[8:9], v[4:5], off
	global_store_b64 v[16:17], v[6:7], off
	v_dual_mov_b32 v5, v15 :: v_dual_add_nc_u32 v4, 0xc8, v14
	v_add_nc_u32_e32 v8, 0xf0, v14
	v_lshlrev_b64_e32 v[18:19], 3, v[18:19]
	v_dual_mov_b32 v9, v15 :: v_dual_add_nc_u32 v6, 0x400, v22
	s_delay_alu instid0(VALU_DEP_4) | instskip(SKIP_1) | instid1(VALU_DEP_4)
	v_lshlrev_b64_e32 v[4:5], 3, v[4:5]
	v_dual_mov_b32 v11, v15 :: v_dual_add_nc_u32 v10, 0x118, v14
	v_add_co_u32 v12, vcc_lo, v24, v18
	s_delay_alu instid0(VALU_DEP_4)
	v_lshlrev_b64_e32 v[8:9], 3, v[8:9]
	s_wait_alu 0xfffd
	v_add_co_ci_u32_e32 v13, vcc_lo, v25, v19, vcc_lo
	v_add_co_u32 v16, vcc_lo, v24, v4
	v_lshlrev_b64_e32 v[18:19], 3, v[10:11]
	v_add_nc_u32_e32 v10, 0x800, v22
	ds_load_2addr_b64 v[0:3], v22 offset0:160 offset1:200
	s_wait_alu 0xfffd
	v_add_co_ci_u32_e32 v17, vcc_lo, v25, v5, vcc_lo
	ds_load_2addr_b64 v[4:7], v6 offset0:112 offset1:152
	v_add_co_u32 v22, vcc_lo, v24, v8
	s_wait_alu 0xfffd
	v_add_co_ci_u32_e32 v23, vcc_lo, v25, v9, vcc_lo
	ds_load_2addr_b64 v[8:11], v10 offset0:64 offset1:104
	v_add_nc_u32_e32 v14, 0x168, v14
	v_add_co_u32 v18, vcc_lo, v24, v18
	s_wait_alu 0xfffd
	v_add_co_ci_u32_e32 v19, vcc_lo, v25, v19, vcc_lo
	s_delay_alu instid0(VALU_DEP_3) | instskip(SKIP_3) | instid1(VALU_DEP_3)
	v_lshlrev_b64_e32 v[14:15], 3, v[14:15]
	v_add_co_u32 v20, vcc_lo, v24, v20
	s_wait_alu 0xfffd
	v_add_co_ci_u32_e32 v21, vcc_lo, v25, v21, vcc_lo
	v_add_co_u32 v14, vcc_lo, v24, v14
	s_wait_alu 0xfffd
	v_add_co_ci_u32_e32 v15, vcc_lo, v25, v15, vcc_lo
	s_wait_dscnt 0x2
	s_clause 0x1
	global_store_b64 v[12:13], v[0:1], off
	global_store_b64 v[16:17], v[2:3], off
	s_wait_dscnt 0x1
	s_clause 0x1
	global_store_b64 v[22:23], v[4:5], off
	global_store_b64 v[18:19], v[6:7], off
	;; [unrolled: 4-line block ×3, first 2 shown]
.LBB0_22:
	s_nop 0
	s_sendmsg sendmsg(MSG_DEALLOC_VGPRS)
	s_endpgm
	.section	.rodata,"a",@progbits
	.p2align	6, 0x0
	.amdhsa_kernel fft_rtc_fwd_len400_factors_4_10_10_wgs_120_tpt_40_halfLds_sp_op_CI_CI_unitstride_sbrr_C2R_dirReg
		.amdhsa_group_segment_fixed_size 0
		.amdhsa_private_segment_fixed_size 0
		.amdhsa_kernarg_size 104
		.amdhsa_user_sgpr_count 2
		.amdhsa_user_sgpr_dispatch_ptr 0
		.amdhsa_user_sgpr_queue_ptr 0
		.amdhsa_user_sgpr_kernarg_segment_ptr 1
		.amdhsa_user_sgpr_dispatch_id 0
		.amdhsa_user_sgpr_private_segment_size 0
		.amdhsa_wavefront_size32 1
		.amdhsa_uses_dynamic_stack 0
		.amdhsa_enable_private_segment 0
		.amdhsa_system_sgpr_workgroup_id_x 1
		.amdhsa_system_sgpr_workgroup_id_y 0
		.amdhsa_system_sgpr_workgroup_id_z 0
		.amdhsa_system_sgpr_workgroup_info 0
		.amdhsa_system_vgpr_workitem_id 0
		.amdhsa_next_free_vgpr 64
		.amdhsa_next_free_sgpr 39
		.amdhsa_reserve_vcc 1
		.amdhsa_float_round_mode_32 0
		.amdhsa_float_round_mode_16_64 0
		.amdhsa_float_denorm_mode_32 3
		.amdhsa_float_denorm_mode_16_64 3
		.amdhsa_fp16_overflow 0
		.amdhsa_workgroup_processor_mode 1
		.amdhsa_memory_ordered 1
		.amdhsa_forward_progress 0
		.amdhsa_round_robin_scheduling 0
		.amdhsa_exception_fp_ieee_invalid_op 0
		.amdhsa_exception_fp_denorm_src 0
		.amdhsa_exception_fp_ieee_div_zero 0
		.amdhsa_exception_fp_ieee_overflow 0
		.amdhsa_exception_fp_ieee_underflow 0
		.amdhsa_exception_fp_ieee_inexact 0
		.amdhsa_exception_int_div_zero 0
	.end_amdhsa_kernel
	.text
.Lfunc_end0:
	.size	fft_rtc_fwd_len400_factors_4_10_10_wgs_120_tpt_40_halfLds_sp_op_CI_CI_unitstride_sbrr_C2R_dirReg, .Lfunc_end0-fft_rtc_fwd_len400_factors_4_10_10_wgs_120_tpt_40_halfLds_sp_op_CI_CI_unitstride_sbrr_C2R_dirReg
                                        ; -- End function
	.section	.AMDGPU.csdata,"",@progbits
; Kernel info:
; codeLenInByte = 6772
; NumSgprs: 41
; NumVgprs: 64
; ScratchSize: 0
; MemoryBound: 0
; FloatMode: 240
; IeeeMode: 1
; LDSByteSize: 0 bytes/workgroup (compile time only)
; SGPRBlocks: 5
; VGPRBlocks: 7
; NumSGPRsForWavesPerEU: 41
; NumVGPRsForWavesPerEU: 64
; Occupancy: 16
; WaveLimiterHint : 1
; COMPUTE_PGM_RSRC2:SCRATCH_EN: 0
; COMPUTE_PGM_RSRC2:USER_SGPR: 2
; COMPUTE_PGM_RSRC2:TRAP_HANDLER: 0
; COMPUTE_PGM_RSRC2:TGID_X_EN: 1
; COMPUTE_PGM_RSRC2:TGID_Y_EN: 0
; COMPUTE_PGM_RSRC2:TGID_Z_EN: 0
; COMPUTE_PGM_RSRC2:TIDIG_COMP_CNT: 0
	.text
	.p2alignl 7, 3214868480
	.fill 96, 4, 3214868480
	.type	__hip_cuid_19ce2634d8a8d817,@object ; @__hip_cuid_19ce2634d8a8d817
	.section	.bss,"aw",@nobits
	.globl	__hip_cuid_19ce2634d8a8d817
__hip_cuid_19ce2634d8a8d817:
	.byte	0                               ; 0x0
	.size	__hip_cuid_19ce2634d8a8d817, 1

	.ident	"AMD clang version 19.0.0git (https://github.com/RadeonOpenCompute/llvm-project roc-6.4.0 25133 c7fe45cf4b819c5991fe208aaa96edf142730f1d)"
	.section	".note.GNU-stack","",@progbits
	.addrsig
	.addrsig_sym __hip_cuid_19ce2634d8a8d817
	.amdgpu_metadata
---
amdhsa.kernels:
  - .args:
      - .actual_access:  read_only
        .address_space:  global
        .offset:         0
        .size:           8
        .value_kind:     global_buffer
      - .offset:         8
        .size:           8
        .value_kind:     by_value
      - .actual_access:  read_only
        .address_space:  global
        .offset:         16
        .size:           8
        .value_kind:     global_buffer
      - .actual_access:  read_only
        .address_space:  global
        .offset:         24
        .size:           8
        .value_kind:     global_buffer
      - .actual_access:  read_only
        .address_space:  global
        .offset:         32
        .size:           8
        .value_kind:     global_buffer
      - .offset:         40
        .size:           8
        .value_kind:     by_value
      - .actual_access:  read_only
        .address_space:  global
        .offset:         48
        .size:           8
        .value_kind:     global_buffer
      - .actual_access:  read_only
        .address_space:  global
        .offset:         56
        .size:           8
        .value_kind:     global_buffer
      - .offset:         64
        .size:           4
        .value_kind:     by_value
      - .actual_access:  read_only
        .address_space:  global
        .offset:         72
        .size:           8
        .value_kind:     global_buffer
      - .actual_access:  read_only
        .address_space:  global
        .offset:         80
        .size:           8
        .value_kind:     global_buffer
      - .actual_access:  read_only
        .address_space:  global
        .offset:         88
        .size:           8
        .value_kind:     global_buffer
      - .actual_access:  write_only
        .address_space:  global
        .offset:         96
        .size:           8
        .value_kind:     global_buffer
    .group_segment_fixed_size: 0
    .kernarg_segment_align: 8
    .kernarg_segment_size: 104
    .language:       OpenCL C
    .language_version:
      - 2
      - 0
    .max_flat_workgroup_size: 120
    .name:           fft_rtc_fwd_len400_factors_4_10_10_wgs_120_tpt_40_halfLds_sp_op_CI_CI_unitstride_sbrr_C2R_dirReg
    .private_segment_fixed_size: 0
    .sgpr_count:     41
    .sgpr_spill_count: 0
    .symbol:         fft_rtc_fwd_len400_factors_4_10_10_wgs_120_tpt_40_halfLds_sp_op_CI_CI_unitstride_sbrr_C2R_dirReg.kd
    .uniform_work_group_size: 1
    .uses_dynamic_stack: false
    .vgpr_count:     64
    .vgpr_spill_count: 0
    .wavefront_size: 32
    .workgroup_processor_mode: 1
amdhsa.target:   amdgcn-amd-amdhsa--gfx1201
amdhsa.version:
  - 1
  - 2
...

	.end_amdgpu_metadata
